;; amdgpu-corpus repo=ROCm/rocFFT kind=compiled arch=gfx1030 opt=O3
	.text
	.amdgcn_target "amdgcn-amd-amdhsa--gfx1030"
	.amdhsa_code_object_version 6
	.protected	bluestein_single_back_len49_dim1_sp_op_CI_CI ; -- Begin function bluestein_single_back_len49_dim1_sp_op_CI_CI
	.globl	bluestein_single_back_len49_dim1_sp_op_CI_CI
	.p2align	8
	.type	bluestein_single_back_len49_dim1_sp_op_CI_CI,@function
bluestein_single_back_len49_dim1_sp_op_CI_CI: ; @bluestein_single_back_len49_dim1_sp_op_CI_CI
; %bb.0:
	s_load_dwordx4 s[12:15], s[4:5], 0x28
	v_mul_u32_u24_e32 v1, 0x2493, v0
	s_mov_b32 s0, exec_lo
	v_lshrrev_b32_e32 v1, 16, v1
	v_mad_u64_u32 v[22:23], null, s6, 9, v[1:2]
	v_mov_b32_e32 v23, 0
	s_waitcnt lgkmcnt(0)
	v_cmpx_gt_u64_e64 s[12:13], v[22:23]
	s_cbranch_execz .LBB0_2
; %bb.1:
	s_clause 0x1
	s_load_dwordx4 s[0:3], s[4:5], 0x18
	s_load_dwordx4 s[8:11], s[4:5], 0x0
	v_mul_lo_u16 v1, v1, 7
	v_mul_hi_u32 v28, 0x38e38e39, v22
	s_load_dwordx2 s[4:5], s[4:5], 0x38
	v_sub_nc_u16 v36, v0, v1
	v_lshrrev_b32_e32 v28, 1, v28
	v_and_b32_e32 v27, 0xffff, v36
	v_lshl_add_u32 v28, v28, 3, v28
	v_lshlrev_b32_e32 v29, 3, v27
	s_waitcnt lgkmcnt(0)
	s_load_dwordx4 s[16:19], s[0:1], 0x0
	s_add_u32 s6, s8, 0x188
	s_addc_u32 s7, s9, 0
	s_clause 0x4
	global_load_dwordx2 v[12:13], v29, s[8:9]
	global_load_dwordx2 v[14:15], v29, s[8:9] offset:56
	global_load_dwordx2 v[16:17], v29, s[8:9] offset:112
	;; [unrolled: 1-line block ×4, first 2 shown]
	v_sub_nc_u32_e32 v28, v22, v28
	v_mul_u32_u24_e32 v28, 49, v28
	v_lshlrev_b32_e32 v37, 3, v28
	v_add_nc_u32_e32 v28, v29, v37
	s_waitcnt lgkmcnt(0)
	v_mad_u64_u32 v[0:1], null, s18, v22, 0
	v_mad_u64_u32 v[2:3], null, s16, v27, 0
	s_mul_i32 s0, s17, 56
	s_mul_hi_u32 s1, s16, 56
	s_mul_i32 s12, s16, 56
	s_add_i32 s1, s1, s0
	v_mad_u64_u32 v[4:5], null, s19, v22, v[1:2]
	v_mad_u64_u32 v[5:6], null, s17, v27, v[3:4]
	v_mov_b32_e32 v1, v4
	v_lshlrev_b64 v[0:1], 3, v[0:1]
	v_mov_b32_e32 v3, v5
	v_add_co_u32 v0, vcc_lo, s14, v0
	v_lshlrev_b64 v[2:3], 3, v[2:3]
	v_add_co_ci_u32_e32 v1, vcc_lo, s15, v1, vcc_lo
	v_add_co_u32 v0, vcc_lo, v0, v2
	v_add_co_ci_u32_e32 v1, vcc_lo, v1, v3, vcc_lo
	v_add_co_u32 v2, vcc_lo, v0, s12
	v_add_co_ci_u32_e32 v3, vcc_lo, s1, v1, vcc_lo
	global_load_dwordx2 v[0:1], v[0:1], off
	v_add_co_u32 v4, vcc_lo, v2, s12
	v_add_co_ci_u32_e32 v5, vcc_lo, s1, v3, vcc_lo
	global_load_dwordx2 v[2:3], v[2:3], off
	v_add_co_u32 v6, vcc_lo, v4, s12
	v_add_co_ci_u32_e32 v7, vcc_lo, s1, v5, vcc_lo
	v_add_co_u32 v8, vcc_lo, v6, s12
	v_add_co_ci_u32_e32 v9, vcc_lo, s1, v7, vcc_lo
	s_clause 0x1
	global_load_dwordx2 v[4:5], v[4:5], off
	global_load_dwordx2 v[6:7], v[6:7], off
	v_add_co_u32 v10, vcc_lo, v8, s12
	v_add_co_ci_u32_e32 v11, vcc_lo, s1, v9, vcc_lo
	global_load_dwordx2 v[8:9], v[8:9], off
	v_add_co_u32 v30, vcc_lo, v10, s12
	v_add_co_ci_u32_e32 v31, vcc_lo, s1, v11, vcc_lo
	global_load_dwordx2 v[10:11], v[10:11], off
	s_clause 0x1
	global_load_dwordx2 v[23:24], v29, s[8:9] offset:280
	global_load_dwordx2 v[25:26], v29, s[8:9] offset:336
	global_load_dwordx2 v[30:31], v[30:31], off
	s_load_dwordx4 s[0:3], s[2:3], 0x0
	s_waitcnt vmcnt(8)
	v_mul_f32_e32 v32, v1, v13
	v_mul_f32_e32 v33, v0, v13
	s_waitcnt vmcnt(7)
	v_mul_f32_e32 v34, v3, v15
	v_mul_f32_e32 v35, v2, v15
	v_fmac_f32_e32 v32, v0, v12
	v_fma_f32 v33, v1, v12, -v33
	v_fmac_f32_e32 v34, v2, v14
	v_fma_f32 v35, v3, v14, -v35
	s_waitcnt vmcnt(6)
	v_mul_f32_e32 v0, v5, v17
	v_mul_f32_e32 v1, v4, v17
	s_waitcnt vmcnt(5)
	v_mul_f32_e32 v2, v7, v19
	v_mul_f32_e32 v3, v6, v19
	v_fmac_f32_e32 v0, v4, v16
	s_waitcnt vmcnt(4)
	v_mul_f32_e32 v4, v9, v21
	v_fma_f32 v1, v5, v16, -v1
	v_fmac_f32_e32 v2, v6, v18
	v_fma_f32 v3, v7, v18, -v3
	v_mul_f32_e32 v5, v8, v21
	s_waitcnt vmcnt(2)
	v_mul_f32_e32 v6, v11, v24
	v_mul_f32_e32 v7, v10, v24
	v_fmac_f32_e32 v4, v8, v20
	s_waitcnt vmcnt(0)
	v_mul_f32_e32 v8, v31, v26
	v_mul_f32_e32 v38, v30, v26
	v_fma_f32 v5, v9, v20, -v5
	v_fmac_f32_e32 v6, v10, v23
	v_fma_f32 v7, v11, v23, -v7
	v_fmac_f32_e32 v8, v30, v25
	v_fma_f32 v9, v31, v25, -v38
	ds_write2_b64 v28, v[32:33], v[34:35] offset1:7
	ds_write2_b64 v28, v[0:1], v[2:3] offset0:14 offset1:21
	ds_write2_b64 v28, v[4:5], v[6:7] offset0:28 offset1:35
	ds_write_b64 v28, v[8:9] offset:336
	s_waitcnt lgkmcnt(0)
	s_barrier
	buffer_gl0_inv
	ds_read2_b64 v[0:3], v28 offset1:7
	ds_read_b64 v[31:32], v28 offset:336
	ds_read2_b64 v[4:7], v28 offset0:14 offset1:21
	ds_read2_b64 v[8:11], v28 offset0:28 offset1:35
	v_mul_lo_u16 v30, v36, 7
	v_mul_u32_u24_e32 v33, 6, v27
	s_waitcnt lgkmcnt(0)
	s_barrier
	buffer_gl0_inv
	v_and_b32_e32 v30, 0xffff, v30
	v_lshlrev_b32_e32 v33, 3, v33
	v_lshl_add_u32 v30, v30, 3, v37
	v_add_f32_e32 v34, v2, v31
	v_add_f32_e32 v35, v3, v32
	v_sub_f32_e32 v2, v2, v31
	v_sub_f32_e32 v3, v3, v32
	v_add_f32_e32 v31, v4, v10
	v_add_f32_e32 v32, v5, v11
	v_sub_f32_e32 v4, v4, v10
	v_sub_f32_e32 v5, v5, v11
	;; [unrolled: 4-line block ×4, first 2 shown]
	v_sub_f32_e32 v34, v34, v10
	v_sub_f32_e32 v35, v35, v11
	v_sub_f32_e32 v31, v10, v31
	v_sub_f32_e32 v32, v11, v32
	v_add_f32_e32 v38, v6, v4
	v_add_f32_e32 v39, v7, v5
	v_sub_f32_e32 v40, v6, v4
	v_sub_f32_e32 v41, v7, v5
	v_add_f32_e32 v8, v10, v8
	v_add_f32_e32 v9, v11, v9
	v_sub_f32_e32 v6, v2, v6
	v_sub_f32_e32 v7, v3, v7
	;; [unrolled: 1-line block ×4, first 2 shown]
	v_add_f32_e32 v2, v38, v2
	v_add_f32_e32 v3, v39, v3
	v_mul_f32_e32 v10, 0x3f4a47b2, v34
	v_mul_f32_e32 v11, 0x3f4a47b2, v35
	;; [unrolled: 1-line block ×6, first 2 shown]
	v_add_f32_e32 v0, v8, v0
	v_add_f32_e32 v1, v9, v1
	v_mul_f32_e32 v40, 0xbf5ff5aa, v4
	v_mul_f32_e32 v41, 0xbf5ff5aa, v5
	v_fmamk_f32 v31, v31, 0x3d64c772, v10
	v_fmamk_f32 v32, v32, 0x3d64c772, v11
	v_fma_f32 v34, 0x3f3bfb3b, v36, -v34
	v_fma_f32 v35, 0x3f3bfb3b, v37, -v35
	;; [unrolled: 1-line block ×4, first 2 shown]
	v_fmamk_f32 v36, v6, 0x3eae86e6, v38
	v_fmamk_f32 v37, v7, 0x3eae86e6, v39
	v_fma_f32 v38, 0x3f5ff5aa, v4, -v38
	v_fma_f32 v39, 0x3f5ff5aa, v5, -v39
	v_mov_b32_e32 v4, v0
	v_mov_b32_e32 v5, v1
	v_fmac_f32_e32 v40, 0xbeae86e6, v6
	v_fmac_f32_e32 v41, 0xbeae86e6, v7
	;; [unrolled: 1-line block ×8, first 2 shown]
	v_add_f32_e32 v31, v31, v4
	v_add_f32_e32 v32, v32, v5
	;; [unrolled: 1-line block ×4, first 2 shown]
	v_fmac_f32_e32 v38, 0x3ee1c552, v2
	v_fmac_f32_e32 v39, 0x3ee1c552, v3
	v_add_f32_e32 v8, v34, v4
	v_add_f32_e32 v9, v35, v5
	;; [unrolled: 1-line block ×3, first 2 shown]
	v_sub_f32_e32 v3, v32, v36
	v_add_f32_e32 v4, v41, v10
	v_sub_f32_e32 v5, v11, v40
	v_sub_f32_e32 v6, v8, v39
	v_add_f32_e32 v7, v38, v9
	v_add_f32_e32 v8, v39, v8
	v_sub_f32_e32 v9, v9, v38
	v_sub_f32_e32 v10, v10, v41
	v_add_f32_e32 v11, v40, v11
	v_sub_f32_e32 v31, v31, v37
	v_add_f32_e32 v32, v36, v32
	ds_write_b64 v30, v[0:1]
	ds_write2_b64 v30, v[2:3], v[4:5] offset0:1 offset1:2
	ds_write2_b64 v30, v[6:7], v[8:9] offset0:3 offset1:4
	;; [unrolled: 1-line block ×3, first 2 shown]
	s_waitcnt lgkmcnt(0)
	s_barrier
	buffer_gl0_inv
	s_clause 0x2
	global_load_dwordx4 v[8:11], v33, s[10:11]
	global_load_dwordx4 v[4:7], v33, s[10:11] offset:16
	global_load_dwordx4 v[0:3], v33, s[10:11] offset:32
	ds_read2_b64 v[31:34], v28 offset1:7
	ds_read2_b64 v[35:38], v28 offset0:14 offset1:21
	ds_read2_b64 v[39:42], v28 offset0:28 offset1:35
	ds_read_b64 v[43:44], v28 offset:336
	s_waitcnt vmcnt(2) lgkmcnt(3)
	v_mul_f32_e32 v45, v34, v9
	v_mul_f32_e32 v46, v33, v9
	s_waitcnt lgkmcnt(2)
	v_mul_f32_e32 v47, v36, v11
	v_mul_f32_e32 v48, v35, v11
	s_waitcnt vmcnt(1)
	v_mul_f32_e32 v49, v38, v5
	v_mul_f32_e32 v50, v37, v5
	s_waitcnt vmcnt(0) lgkmcnt(1)
	v_mul_f32_e32 v53, v42, v1
	v_mul_f32_e32 v54, v41, v1
	s_waitcnt lgkmcnt(0)
	v_mul_f32_e32 v55, v44, v3
	v_mul_f32_e32 v56, v43, v3
	v_mul_f32_e32 v51, v40, v7
	v_mul_f32_e32 v52, v39, v7
	v_fma_f32 v33, v33, v8, -v45
	v_fmac_f32_e32 v46, v34, v8
	v_fma_f32 v34, v35, v10, -v47
	v_fmac_f32_e32 v48, v36, v10
	;; [unrolled: 2-line block ×6, first 2 shown]
	v_add_f32_e32 v39, v33, v37
	v_add_f32_e32 v40, v46, v56
	;; [unrolled: 1-line block ×4, first 2 shown]
	v_sub_f32_e32 v33, v33, v37
	v_sub_f32_e32 v37, v46, v56
	;; [unrolled: 1-line block ×3, first 2 shown]
	v_add_f32_e32 v43, v35, v36
	v_add_f32_e32 v44, v50, v52
	v_sub_f32_e32 v35, v36, v35
	v_add_f32_e32 v45, v41, v39
	v_add_f32_e32 v46, v42, v40
	v_sub_f32_e32 v38, v48, v54
	v_sub_f32_e32 v36, v52, v50
	;; [unrolled: 1-line block ×8, first 2 shown]
	v_add_f32_e32 v49, v35, v34
	v_sub_f32_e32 v51, v35, v34
	v_sub_f32_e32 v34, v34, v33
	v_add_f32_e32 v43, v43, v45
	v_add_f32_e32 v44, v44, v46
	;; [unrolled: 1-line block ×3, first 2 shown]
	v_sub_f32_e32 v52, v36, v38
	v_sub_f32_e32 v35, v33, v35
	v_add_f32_e32 v33, v49, v33
	v_mul_f32_e32 v39, 0x3f4a47b2, v39
	v_mul_f32_e32 v45, 0x3d64c772, v41
	;; [unrolled: 1-line block ×4, first 2 shown]
	v_add_f32_e32 v31, v43, v31
	v_add_f32_e32 v32, v44, v32
	v_sub_f32_e32 v38, v38, v37
	v_sub_f32_e32 v36, v37, v36
	v_add_f32_e32 v37, v50, v37
	v_mul_f32_e32 v40, 0x3f4a47b2, v40
	v_mul_f32_e32 v46, 0x3d64c772, v42
	;; [unrolled: 1-line block ×3, first 2 shown]
	v_fmamk_f32 v41, v41, 0x3d64c772, v39
	v_fma_f32 v45, 0x3f3bfb3b, v47, -v45
	v_fma_f32 v39, 0xbf3bfb3b, v47, -v39
	v_fmamk_f32 v47, v35, 0x3eae86e6, v49
	v_fma_f32 v49, 0x3f5ff5aa, v34, -v49
	v_fmac_f32_e32 v51, 0xbeae86e6, v35
	v_mov_b32_e32 v34, v31
	v_mov_b32_e32 v35, v32
	v_mul_f32_e32 v52, 0xbf5ff5aa, v38
	v_fmamk_f32 v42, v42, 0x3d64c772, v40
	v_fma_f32 v46, 0x3f3bfb3b, v48, -v46
	v_fma_f32 v40, 0xbf3bfb3b, v48, -v40
	v_fmamk_f32 v48, v36, 0x3eae86e6, v50
	v_fmac_f32_e32 v34, 0xbf955555, v43
	v_fmac_f32_e32 v35, 0xbf955555, v44
	v_fma_f32 v50, 0x3f5ff5aa, v38, -v50
	v_fmac_f32_e32 v52, 0xbeae86e6, v36
	v_fmac_f32_e32 v47, 0x3ee1c552, v33
	;; [unrolled: 1-line block ×3, first 2 shown]
	v_add_f32_e32 v43, v41, v34
	v_add_f32_e32 v44, v42, v35
	v_fmac_f32_e32 v49, 0x3ee1c552, v33
	v_fmac_f32_e32 v50, 0x3ee1c552, v37
	;; [unrolled: 1-line block ×4, first 2 shown]
	v_add_f32_e32 v41, v45, v34
	v_add_f32_e32 v42, v39, v34
	v_add_f32_e32 v45, v40, v35
	v_add_f32_e32 v40, v46, v35
	v_add_f32_e32 v33, v48, v43
	v_sub_f32_e32 v34, v44, v47
	v_add_f32_e32 v35, v52, v42
	v_sub_f32_e32 v36, v45, v51
	v_sub_f32_e32 v37, v41, v50
	v_add_f32_e32 v38, v49, v40
	v_add_f32_e32 v39, v50, v41
	v_sub_f32_e32 v40, v40, v49
	v_sub_f32_e32 v41, v42, v52
	v_add_f32_e32 v42, v51, v45
	v_sub_f32_e32 v43, v43, v48
	v_add_f32_e32 v44, v47, v44
	ds_write2_b64 v28, v[31:32], v[33:34] offset1:7
	ds_write2_b64 v28, v[35:36], v[37:38] offset0:14 offset1:21
	ds_write2_b64 v28, v[39:40], v[41:42] offset0:28 offset1:35
	ds_write_b64 v28, v[43:44] offset:336
	s_waitcnt lgkmcnt(0)
	s_barrier
	buffer_gl0_inv
	s_clause 0x6
	global_load_dwordx2 v[43:44], v29, s[8:9] offset:392
	global_load_dwordx2 v[45:46], v29, s[6:7] offset:56
	;; [unrolled: 1-line block ×7, first 2 shown]
	ds_read2_b64 v[31:34], v28 offset1:7
	ds_read2_b64 v[35:38], v28 offset0:14 offset1:21
	ds_read2_b64 v[39:42], v28 offset0:28 offset1:35
	s_mul_hi_u32 s6, s0, 56
	s_waitcnt vmcnt(6) lgkmcnt(2)
	v_mul_f32_e32 v29, v32, v44
	v_mul_f32_e32 v58, v31, v44
	s_waitcnt vmcnt(4) lgkmcnt(1)
	v_mul_f32_e32 v44, v35, v48
	v_fma_f32 v57, v31, v43, -v29
	v_mul_f32_e32 v29, v34, v46
	v_fmac_f32_e32 v58, v32, v43
	v_mul_f32_e32 v32, v33, v46
	s_waitcnt vmcnt(3)
	v_mul_f32_e32 v46, v37, v50
	v_fmac_f32_e32 v44, v36, v47
	v_fma_f32 v31, v33, v45, -v29
	v_mul_f32_e32 v29, v36, v48
	v_fmac_f32_e32 v32, v34, v45
	ds_read_b64 v[33:34], v28 offset:336
	v_mul_f32_e32 v45, v38, v50
	s_waitcnt vmcnt(2) lgkmcnt(1)
	v_mul_f32_e32 v36, v39, v52
	v_fma_f32 v43, v35, v47, -v29
	v_mul_f32_e32 v29, v40, v52
	v_fmac_f32_e32 v46, v38, v49
	v_fma_f32 v45, v37, v49, -v45
	s_waitcnt vmcnt(1)
	v_mul_f32_e32 v37, v42, v54
	v_mul_f32_e32 v38, v41, v54
	v_fma_f32 v35, v39, v51, -v29
	v_fmac_f32_e32 v36, v40, v51
	v_fma_f32 v37, v41, v53, -v37
	v_fmac_f32_e32 v38, v42, v53
	s_waitcnt vmcnt(0) lgkmcnt(0)
	v_mul_f32_e32 v47, v34, v56
	v_mul_f32_e32 v48, v33, v56
	v_fma_f32 v47, v33, v55, -v47
	v_fmac_f32_e32 v48, v34, v55
	ds_write2_b64 v28, v[57:58], v[31:32] offset1:7
	ds_write2_b64 v28, v[43:44], v[45:46] offset0:14 offset1:21
	ds_write2_b64 v28, v[35:36], v[37:38] offset0:28 offset1:35
	ds_write_b64 v28, v[47:48] offset:336
	s_waitcnt lgkmcnt(0)
	s_barrier
	buffer_gl0_inv
	ds_read2_b64 v[31:34], v28 offset1:7
	ds_read_b64 v[43:44], v28 offset:336
	ds_read2_b64 v[35:38], v28 offset0:14 offset1:21
	ds_read2_b64 v[39:42], v28 offset0:28 offset1:35
	s_waitcnt lgkmcnt(0)
	s_barrier
	buffer_gl0_inv
	v_add_f32_e32 v29, v33, v43
	v_add_f32_e32 v45, v34, v44
	v_sub_f32_e32 v33, v33, v43
	v_sub_f32_e32 v34, v34, v44
	v_add_f32_e32 v43, v35, v41
	v_add_f32_e32 v44, v36, v42
	v_sub_f32_e32 v35, v35, v41
	v_sub_f32_e32 v36, v36, v42
	;; [unrolled: 4-line block ×4, first 2 shown]
	v_sub_f32_e32 v29, v29, v41
	v_sub_f32_e32 v45, v45, v42
	;; [unrolled: 1-line block ×4, first 2 shown]
	v_add_f32_e32 v48, v37, v35
	v_add_f32_e32 v49, v38, v36
	v_sub_f32_e32 v50, v37, v35
	v_sub_f32_e32 v51, v38, v36
	v_add_f32_e32 v39, v41, v39
	v_add_f32_e32 v40, v42, v40
	v_sub_f32_e32 v37, v33, v37
	v_sub_f32_e32 v38, v34, v38
	;; [unrolled: 1-line block ×4, first 2 shown]
	v_add_f32_e32 v33, v48, v33
	v_add_f32_e32 v34, v49, v34
	v_mul_f32_e32 v29, 0x3f4a47b2, v29
	v_mul_f32_e32 v41, 0x3f4a47b2, v45
	;; [unrolled: 1-line block ×6, first 2 shown]
	v_add_f32_e32 v31, v39, v31
	v_add_f32_e32 v32, v40, v32
	v_mul_f32_e32 v50, 0x3f5ff5aa, v35
	v_mul_f32_e32 v51, 0x3f5ff5aa, v36
	v_fmamk_f32 v43, v43, 0x3d64c772, v29
	v_fmamk_f32 v44, v44, 0x3d64c772, v41
	v_fma_f32 v42, 0x3f3bfb3b, v46, -v42
	v_fma_f32 v45, 0x3f3bfb3b, v47, -v45
	v_fma_f32 v29, 0xbf3bfb3b, v46, -v29
	v_fma_f32 v41, 0xbf3bfb3b, v47, -v41
	v_fmamk_f32 v46, v37, 0xbeae86e6, v48
	v_fmamk_f32 v47, v38, 0xbeae86e6, v49
	v_fma_f32 v48, 0xbf5ff5aa, v35, -v48
	v_fma_f32 v49, 0xbf5ff5aa, v36, -v49
	v_mov_b32_e32 v35, v31
	v_mov_b32_e32 v36, v32
	v_fmac_f32_e32 v50, 0x3eae86e6, v37
	v_fmac_f32_e32 v51, 0x3eae86e6, v38
	;; [unrolled: 1-line block ×8, first 2 shown]
	v_add_f32_e32 v43, v43, v35
	v_add_f32_e32 v44, v44, v36
	;; [unrolled: 1-line block ×5, first 2 shown]
	v_fmac_f32_e32 v48, 0xbee1c552, v33
	v_fmac_f32_e32 v49, 0xbee1c552, v34
	v_add_f32_e32 v40, v45, v36
	v_add_f32_e32 v33, v43, v47
	v_sub_f32_e32 v34, v44, v46
	v_add_f32_e32 v35, v51, v29
	v_sub_f32_e32 v36, v42, v50
	v_sub_f32_e32 v37, v39, v49
	v_add_f32_e32 v38, v48, v40
	v_add_f32_e32 v39, v49, v39
	v_sub_f32_e32 v40, v40, v48
	v_sub_f32_e32 v41, v29, v51
	v_add_f32_e32 v42, v50, v42
	v_sub_f32_e32 v43, v43, v47
	v_add_f32_e32 v44, v46, v44
	ds_write_b64 v30, v[31:32]
	ds_write2_b64 v30, v[33:34], v[35:36] offset0:1 offset1:2
	ds_write2_b64 v30, v[37:38], v[39:40] offset0:3 offset1:4
	;; [unrolled: 1-line block ×3, first 2 shown]
	s_waitcnt lgkmcnt(0)
	s_barrier
	buffer_gl0_inv
	ds_read2_b64 v[29:32], v28 offset1:7
	ds_read2_b64 v[33:36], v28 offset0:14 offset1:21
	ds_read2_b64 v[37:40], v28 offset0:28 offset1:35
	ds_read_b64 v[41:42], v28 offset:336
	v_mad_u64_u32 v[43:44], null, s2, v22, 0
	v_mad_u64_u32 v[45:46], null, s0, v27, 0
	s_mul_i32 s0, s0, 56
	s_waitcnt lgkmcnt(3)
	v_mul_f32_e32 v47, v9, v32
	v_mul_f32_e32 v9, v9, v31
	s_waitcnt lgkmcnt(2)
	v_mul_f32_e32 v48, v11, v34
	v_mul_f32_e32 v11, v11, v33
	;; [unrolled: 3-line block ×4, first 2 shown]
	v_mul_f32_e32 v49, v5, v36
	v_mul_f32_e32 v5, v5, v35
	;; [unrolled: 1-line block ×4, first 2 shown]
	v_fmac_f32_e32 v47, v8, v31
	v_fma_f32 v8, v8, v32, -v9
	v_fmac_f32_e32 v48, v10, v33
	v_fma_f32 v9, v10, v34, -v11
	;; [unrolled: 2-line block ×6, first 2 shown]
	v_add_f32_e32 v1, v47, v52
	v_add_f32_e32 v5, v8, v2
	v_sub_f32_e32 v2, v8, v2
	v_add_f32_e32 v7, v48, v51
	v_add_f32_e32 v8, v9, v0
	v_sub_f32_e32 v6, v47, v52
	v_sub_f32_e32 v10, v48, v51
	;; [unrolled: 1-line block ×3, first 2 shown]
	v_add_f32_e32 v9, v49, v50
	v_add_f32_e32 v11, v4, v3
	v_sub_f32_e32 v31, v50, v49
	v_sub_f32_e32 v3, v3, v4
	v_add_f32_e32 v4, v7, v1
	v_add_f32_e32 v32, v8, v5
	v_sub_f32_e32 v33, v7, v1
	v_sub_f32_e32 v1, v1, v9
	;; [unrolled: 1-line block ×3, first 2 shown]
	v_add_f32_e32 v35, v31, v10
	v_add_f32_e32 v36, v3, v0
	v_sub_f32_e32 v37, v31, v10
	v_sub_f32_e32 v38, v3, v0
	;; [unrolled: 1-line block ×4, first 2 shown]
	v_add_f32_e32 v4, v9, v4
	v_add_f32_e32 v9, v11, v32
	v_sub_f32_e32 v34, v8, v5
	v_sub_f32_e32 v5, v5, v11
	;; [unrolled: 1-line block ×5, first 2 shown]
	v_add_f32_e32 v2, v36, v2
	v_mul_f32_e32 v11, 0x3f4a47b2, v1
	v_mul_f32_e32 v32, 0x3d64c772, v7
	;; [unrolled: 1-line block ×6, first 2 shown]
	v_add_f32_e32 v0, v4, v29
	v_add_f32_e32 v1, v9, v30
	v_mul_f32_e32 v5, 0x3f4a47b2, v5
	v_fmamk_f32 v7, v7, 0x3d64c772, v11
	v_fma_f32 v29, 0x3f3bfb3b, v33, -v32
	v_fma_f32 v11, 0xbf3bfb3b, v33, -v11
	v_fmamk_f32 v32, v31, 0xbeae86e6, v36
	v_fmamk_f32 v33, v3, 0xbeae86e6, v37
	v_fmac_f32_e32 v38, 0x3eae86e6, v31
	v_fmac_f32_e32 v40, 0x3eae86e6, v3
	v_mov_b32_e32 v3, v0
	v_mov_b32_e32 v31, v1
	v_add_f32_e32 v6, v35, v6
	v_mul_f32_e32 v35, 0x3d64c772, v8
	v_fmamk_f32 v8, v8, 0x3d64c772, v5
	v_fmac_f32_e32 v3, 0xbf955555, v4
	v_fmac_f32_e32 v31, 0xbf955555, v9
	v_fma_f32 v5, 0xbf3bfb3b, v34, -v5
	v_fma_f32 v30, 0x3f3bfb3b, v34, -v35
	;; [unrolled: 1-line block ×4, first 2 shown]
	v_fmac_f32_e32 v32, 0xbee1c552, v6
	v_fmac_f32_e32 v33, 0xbee1c552, v2
	v_add_f32_e32 v35, v7, v3
	v_add_f32_e32 v36, v8, v31
	v_fmac_f32_e32 v10, 0xbee1c552, v6
	v_fmac_f32_e32 v34, 0xbee1c552, v2
	v_fmac_f32_e32 v38, 0xbee1c552, v6
	v_fmac_f32_e32 v40, 0xbee1c552, v2
	v_add_f32_e32 v8, v29, v3
	v_add_f32_e32 v11, v11, v3
	v_add_f32_e32 v29, v5, v31
	v_add_f32_e32 v9, v30, v31
	v_add_f32_e32 v2, v33, v35
	v_sub_f32_e32 v3, v36, v32
	v_add_f32_e32 v4, v40, v11
	v_sub_f32_e32 v5, v29, v38
	v_sub_f32_e32 v6, v8, v34
	v_add_f32_e32 v7, v10, v9
	v_add_f32_e32 v8, v34, v8
	v_sub_f32_e32 v9, v9, v10
	v_sub_f32_e32 v10, v11, v40
	v_add_f32_e32 v11, v38, v29
	v_sub_f32_e32 v29, v35, v33
	v_add_f32_e32 v30, v32, v36
	v_mov_b32_e32 v31, v44
	ds_write2_b64 v28, v[0:1], v[2:3] offset1:7
	ds_write2_b64 v28, v[4:5], v[6:7] offset0:14 offset1:21
	ds_write2_b64 v28, v[8:9], v[10:11] offset0:28 offset1:35
	ds_write_b64 v28, v[29:30] offset:336
	v_mov_b32_e32 v8, v46
	s_waitcnt lgkmcnt(0)
	s_barrier
	buffer_gl0_inv
	ds_read2_b64 v[0:3], v28 offset1:7
	ds_read2_b64 v[4:7], v28 offset0:14 offset1:21
	v_mad_u64_u32 v[29:30], null, s3, v22, v[31:32]
	v_mad_u64_u32 v[30:31], null, s1, v27, v[8:9]
	ds_read2_b64 v[8:11], v28 offset0:28 offset1:35
	ds_read_b64 v[27:28], v28 offset:336
	s_mov_b32 s2, 0xa72f0539
	s_mov_b32 s3, 0x3f94e5e0
	v_mov_b32_e32 v44, v29
	s_mul_i32 s1, s1, 56
	v_mov_b32_e32 v46, v30
	s_add_i32 s6, s6, s1
	v_lshlrev_b64 v[29:30], 3, v[43:44]
	v_lshlrev_b64 v[31:32], 3, v[45:46]
	s_waitcnt lgkmcnt(3)
	v_mul_f32_e32 v22, v13, v1
	v_mul_f32_e32 v13, v13, v0
	v_mul_f32_e32 v33, v15, v3
	v_mul_f32_e32 v15, v15, v2
	s_waitcnt lgkmcnt(2)
	v_mul_f32_e32 v34, v17, v5
	v_mul_f32_e32 v17, v17, v4
	v_mul_f32_e32 v35, v19, v7
	v_mul_f32_e32 v19, v19, v6
	;; [unrolled: 5-line block ×3, first 2 shown]
	v_fmac_f32_e32 v22, v12, v0
	v_fma_f32 v12, v12, v1, -v13
	s_waitcnt lgkmcnt(0)
	v_mul_f32_e32 v38, v26, v28
	v_mul_f32_e32 v26, v26, v27
	v_fmac_f32_e32 v33, v14, v2
	v_fma_f32 v13, v14, v3, -v15
	v_fmac_f32_e32 v34, v16, v4
	v_fma_f32 v14, v16, v5, -v17
	;; [unrolled: 2-line block ×5, first 2 shown]
	v_cvt_f64_f32_e32 v[0:1], v22
	v_cvt_f64_f32_e32 v[2:3], v12
	v_fmac_f32_e32 v38, v25, v27
	v_fma_f32 v26, v25, v28, -v26
	v_cvt_f64_f32_e32 v[4:5], v33
	v_cvt_f64_f32_e32 v[6:7], v13
	;; [unrolled: 1-line block ×12, first 2 shown]
	v_add_co_u32 v28, vcc_lo, s4, v29
	v_add_co_ci_u32_e32 v29, vcc_lo, s5, v30, vcc_lo
	v_add_co_u32 v28, vcc_lo, v28, v31
	v_mul_f64 v[0:1], v[0:1], s[2:3]
	v_mul_f64 v[2:3], v[2:3], s[2:3]
	v_add_co_ci_u32_e32 v29, vcc_lo, v29, v32, vcc_lo
	v_mul_f64 v[4:5], v[4:5], s[2:3]
	v_mul_f64 v[6:7], v[6:7], s[2:3]
	;; [unrolled: 1-line block ×12, first 2 shown]
	v_add_co_u32 v30, vcc_lo, v28, s0
	v_add_co_ci_u32_e32 v31, vcc_lo, s6, v29, vcc_lo
	v_add_co_u32 v32, vcc_lo, v30, s0
	v_cvt_f32_f64_e32 v0, v[0:1]
	v_cvt_f32_f64_e32 v1, v[2:3]
	v_add_co_ci_u32_e32 v33, vcc_lo, s6, v31, vcc_lo
	v_cvt_f32_f64_e32 v2, v[4:5]
	v_cvt_f32_f64_e32 v3, v[6:7]
	;; [unrolled: 1-line block ×10, first 2 shown]
	v_add_co_u32 v14, vcc_lo, v32, s0
	v_cvt_f32_f64_e32 v12, v[24:25]
	v_cvt_f32_f64_e32 v13, v[26:27]
	v_add_co_ci_u32_e32 v15, vcc_lo, s6, v33, vcc_lo
	v_add_co_u32 v16, vcc_lo, v14, s0
	v_add_co_ci_u32_e32 v17, vcc_lo, s6, v15, vcc_lo
	v_add_co_u32 v18, vcc_lo, v16, s0
	;; [unrolled: 2-line block ×3, first 2 shown]
	v_add_co_ci_u32_e32 v21, vcc_lo, s6, v19, vcc_lo
	global_store_dwordx2 v[28:29], v[0:1], off
	global_store_dwordx2 v[30:31], v[2:3], off
	;; [unrolled: 1-line block ×7, first 2 shown]
.LBB0_2:
	s_endpgm
	.section	.rodata,"a",@progbits
	.p2align	6, 0x0
	.amdhsa_kernel bluestein_single_back_len49_dim1_sp_op_CI_CI
		.amdhsa_group_segment_fixed_size 3528
		.amdhsa_private_segment_fixed_size 0
		.amdhsa_kernarg_size 104
		.amdhsa_user_sgpr_count 6
		.amdhsa_user_sgpr_private_segment_buffer 1
		.amdhsa_user_sgpr_dispatch_ptr 0
		.amdhsa_user_sgpr_queue_ptr 0
		.amdhsa_user_sgpr_kernarg_segment_ptr 1
		.amdhsa_user_sgpr_dispatch_id 0
		.amdhsa_user_sgpr_flat_scratch_init 0
		.amdhsa_user_sgpr_private_segment_size 0
		.amdhsa_wavefront_size32 1
		.amdhsa_uses_dynamic_stack 0
		.amdhsa_system_sgpr_private_segment_wavefront_offset 0
		.amdhsa_system_sgpr_workgroup_id_x 1
		.amdhsa_system_sgpr_workgroup_id_y 0
		.amdhsa_system_sgpr_workgroup_id_z 0
		.amdhsa_system_sgpr_workgroup_info 0
		.amdhsa_system_vgpr_workitem_id 0
		.amdhsa_next_free_vgpr 59
		.amdhsa_next_free_sgpr 20
		.amdhsa_reserve_vcc 1
		.amdhsa_reserve_flat_scratch 0
		.amdhsa_float_round_mode_32 0
		.amdhsa_float_round_mode_16_64 0
		.amdhsa_float_denorm_mode_32 3
		.amdhsa_float_denorm_mode_16_64 3
		.amdhsa_dx10_clamp 1
		.amdhsa_ieee_mode 1
		.amdhsa_fp16_overflow 0
		.amdhsa_workgroup_processor_mode 1
		.amdhsa_memory_ordered 1
		.amdhsa_forward_progress 0
		.amdhsa_shared_vgpr_count 0
		.amdhsa_exception_fp_ieee_invalid_op 0
		.amdhsa_exception_fp_denorm_src 0
		.amdhsa_exception_fp_ieee_div_zero 0
		.amdhsa_exception_fp_ieee_overflow 0
		.amdhsa_exception_fp_ieee_underflow 0
		.amdhsa_exception_fp_ieee_inexact 0
		.amdhsa_exception_int_div_zero 0
	.end_amdhsa_kernel
	.text
.Lfunc_end0:
	.size	bluestein_single_back_len49_dim1_sp_op_CI_CI, .Lfunc_end0-bluestein_single_back_len49_dim1_sp_op_CI_CI
                                        ; -- End function
	.section	.AMDGPU.csdata,"",@progbits
; Kernel info:
; codeLenInByte = 4204
; NumSgprs: 22
; NumVgprs: 59
; ScratchSize: 0
; MemoryBound: 0
; FloatMode: 240
; IeeeMode: 1
; LDSByteSize: 3528 bytes/workgroup (compile time only)
; SGPRBlocks: 2
; VGPRBlocks: 7
; NumSGPRsForWavesPerEU: 22
; NumVGPRsForWavesPerEU: 59
; Occupancy: 16
; WaveLimiterHint : 1
; COMPUTE_PGM_RSRC2:SCRATCH_EN: 0
; COMPUTE_PGM_RSRC2:USER_SGPR: 6
; COMPUTE_PGM_RSRC2:TRAP_HANDLER: 0
; COMPUTE_PGM_RSRC2:TGID_X_EN: 1
; COMPUTE_PGM_RSRC2:TGID_Y_EN: 0
; COMPUTE_PGM_RSRC2:TGID_Z_EN: 0
; COMPUTE_PGM_RSRC2:TIDIG_COMP_CNT: 0
	.text
	.p2alignl 6, 3214868480
	.fill 48, 4, 3214868480
	.type	__hip_cuid_f296fe15b7a0adcf,@object ; @__hip_cuid_f296fe15b7a0adcf
	.section	.bss,"aw",@nobits
	.globl	__hip_cuid_f296fe15b7a0adcf
__hip_cuid_f296fe15b7a0adcf:
	.byte	0                               ; 0x0
	.size	__hip_cuid_f296fe15b7a0adcf, 1

	.ident	"AMD clang version 19.0.0git (https://github.com/RadeonOpenCompute/llvm-project roc-6.4.0 25133 c7fe45cf4b819c5991fe208aaa96edf142730f1d)"
	.section	".note.GNU-stack","",@progbits
	.addrsig
	.addrsig_sym __hip_cuid_f296fe15b7a0adcf
	.amdgpu_metadata
---
amdhsa.kernels:
  - .args:
      - .actual_access:  read_only
        .address_space:  global
        .offset:         0
        .size:           8
        .value_kind:     global_buffer
      - .actual_access:  read_only
        .address_space:  global
        .offset:         8
        .size:           8
        .value_kind:     global_buffer
      - .actual_access:  read_only
        .address_space:  global
        .offset:         16
        .size:           8
        .value_kind:     global_buffer
      - .actual_access:  read_only
        .address_space:  global
        .offset:         24
        .size:           8
        .value_kind:     global_buffer
      - .actual_access:  read_only
        .address_space:  global
        .offset:         32
        .size:           8
        .value_kind:     global_buffer
      - .offset:         40
        .size:           8
        .value_kind:     by_value
      - .address_space:  global
        .offset:         48
        .size:           8
        .value_kind:     global_buffer
      - .address_space:  global
        .offset:         56
        .size:           8
        .value_kind:     global_buffer
      - .address_space:  global
        .offset:         64
        .size:           8
        .value_kind:     global_buffer
      - .address_space:  global
        .offset:         72
        .size:           8
        .value_kind:     global_buffer
      - .offset:         80
        .size:           4
        .value_kind:     by_value
      - .address_space:  global
        .offset:         88
        .size:           8
        .value_kind:     global_buffer
      - .address_space:  global
        .offset:         96
        .size:           8
        .value_kind:     global_buffer
    .group_segment_fixed_size: 3528
    .kernarg_segment_align: 8
    .kernarg_segment_size: 104
    .language:       OpenCL C
    .language_version:
      - 2
      - 0
    .max_flat_workgroup_size: 63
    .name:           bluestein_single_back_len49_dim1_sp_op_CI_CI
    .private_segment_fixed_size: 0
    .sgpr_count:     22
    .sgpr_spill_count: 0
    .symbol:         bluestein_single_back_len49_dim1_sp_op_CI_CI.kd
    .uniform_work_group_size: 1
    .uses_dynamic_stack: false
    .vgpr_count:     59
    .vgpr_spill_count: 0
    .wavefront_size: 32
    .workgroup_processor_mode: 1
amdhsa.target:   amdgcn-amd-amdhsa--gfx1030
amdhsa.version:
  - 1
  - 2
...

	.end_amdgpu_metadata
